;; amdgpu-corpus repo=ROCm/rocFFT kind=compiled arch=gfx1030 opt=O3
	.text
	.amdgcn_target "amdgcn-amd-amdhsa--gfx1030"
	.amdhsa_code_object_version 6
	.protected	fft_rtc_back_len1040_factors_13_16_5_wgs_208_tpt_208_halfLds_dp_op_CI_CI_unitstride_sbrr_C2R_dirReg ; -- Begin function fft_rtc_back_len1040_factors_13_16_5_wgs_208_tpt_208_halfLds_dp_op_CI_CI_unitstride_sbrr_C2R_dirReg
	.globl	fft_rtc_back_len1040_factors_13_16_5_wgs_208_tpt_208_halfLds_dp_op_CI_CI_unitstride_sbrr_C2R_dirReg
	.p2align	8
	.type	fft_rtc_back_len1040_factors_13_16_5_wgs_208_tpt_208_halfLds_dp_op_CI_CI_unitstride_sbrr_C2R_dirReg,@function
fft_rtc_back_len1040_factors_13_16_5_wgs_208_tpt_208_halfLds_dp_op_CI_CI_unitstride_sbrr_C2R_dirReg: ; @fft_rtc_back_len1040_factors_13_16_5_wgs_208_tpt_208_halfLds_dp_op_CI_CI_unitstride_sbrr_C2R_dirReg
; %bb.0:
	s_clause 0x2
	s_load_dwordx4 s[12:15], s[4:5], 0x0
	s_load_dwordx4 s[8:11], s[4:5], 0x58
	;; [unrolled: 1-line block ×3, first 2 shown]
	v_mul_u32_u24_e32 v1, 0x13c, v0
	v_mov_b32_e32 v3, 0
	v_add_nc_u32_sdwa v5, s6, v1 dst_sel:DWORD dst_unused:UNUSED_PAD src0_sel:DWORD src1_sel:WORD_1
	v_mov_b32_e32 v1, 0
	v_mov_b32_e32 v6, v3
	v_mov_b32_e32 v2, 0
	s_waitcnt lgkmcnt(0)
	v_cmp_lt_u64_e64 s0, s[14:15], 2
	s_and_b32 vcc_lo, exec_lo, s0
	s_cbranch_vccnz .LBB0_8
; %bb.1:
	s_load_dwordx2 s[0:1], s[4:5], 0x10
	v_mov_b32_e32 v1, 0
	v_mov_b32_e32 v2, 0
	s_add_u32 s2, s18, 8
	s_addc_u32 s3, s19, 0
	s_add_u32 s6, s16, 8
	s_addc_u32 s7, s17, 0
	v_mov_b32_e32 v65, v2
	v_mov_b32_e32 v64, v1
	s_mov_b64 s[22:23], 1
	s_waitcnt lgkmcnt(0)
	s_add_u32 s20, s0, 8
	s_addc_u32 s21, s1, 0
.LBB0_2:                                ; =>This Inner Loop Header: Depth=1
	s_load_dwordx2 s[24:25], s[20:21], 0x0
                                        ; implicit-def: $vgpr66_vgpr67
	s_mov_b32 s0, exec_lo
	s_waitcnt lgkmcnt(0)
	v_or_b32_e32 v4, s25, v6
	v_cmpx_ne_u64_e32 0, v[3:4]
	s_xor_b32 s1, exec_lo, s0
	s_cbranch_execz .LBB0_4
; %bb.3:                                ;   in Loop: Header=BB0_2 Depth=1
	v_cvt_f32_u32_e32 v4, s24
	v_cvt_f32_u32_e32 v7, s25
	s_sub_u32 s0, 0, s24
	s_subb_u32 s26, 0, s25
	v_fmac_f32_e32 v4, 0x4f800000, v7
	v_rcp_f32_e32 v4, v4
	v_mul_f32_e32 v4, 0x5f7ffffc, v4
	v_mul_f32_e32 v7, 0x2f800000, v4
	v_trunc_f32_e32 v7, v7
	v_fmac_f32_e32 v4, 0xcf800000, v7
	v_cvt_u32_f32_e32 v7, v7
	v_cvt_u32_f32_e32 v4, v4
	v_mul_lo_u32 v8, s0, v7
	v_mul_hi_u32 v9, s0, v4
	v_mul_lo_u32 v10, s26, v4
	v_add_nc_u32_e32 v8, v9, v8
	v_mul_lo_u32 v9, s0, v4
	v_add_nc_u32_e32 v8, v8, v10
	v_mul_hi_u32 v10, v4, v9
	v_mul_lo_u32 v11, v4, v8
	v_mul_hi_u32 v12, v4, v8
	v_mul_hi_u32 v13, v7, v9
	v_mul_lo_u32 v9, v7, v9
	v_mul_hi_u32 v14, v7, v8
	v_mul_lo_u32 v8, v7, v8
	v_add_co_u32 v10, vcc_lo, v10, v11
	v_add_co_ci_u32_e32 v11, vcc_lo, 0, v12, vcc_lo
	v_add_co_u32 v9, vcc_lo, v10, v9
	v_add_co_ci_u32_e32 v9, vcc_lo, v11, v13, vcc_lo
	v_add_co_ci_u32_e32 v10, vcc_lo, 0, v14, vcc_lo
	v_add_co_u32 v8, vcc_lo, v9, v8
	v_add_co_ci_u32_e32 v9, vcc_lo, 0, v10, vcc_lo
	v_add_co_u32 v4, vcc_lo, v4, v8
	v_add_co_ci_u32_e32 v7, vcc_lo, v7, v9, vcc_lo
	v_mul_hi_u32 v8, s0, v4
	v_mul_lo_u32 v10, s26, v4
	v_mul_lo_u32 v9, s0, v7
	v_add_nc_u32_e32 v8, v8, v9
	v_mul_lo_u32 v9, s0, v4
	v_add_nc_u32_e32 v8, v8, v10
	v_mul_hi_u32 v10, v4, v9
	v_mul_lo_u32 v11, v4, v8
	v_mul_hi_u32 v12, v4, v8
	v_mul_hi_u32 v13, v7, v9
	v_mul_lo_u32 v9, v7, v9
	v_mul_hi_u32 v14, v7, v8
	v_mul_lo_u32 v8, v7, v8
	v_add_co_u32 v10, vcc_lo, v10, v11
	v_add_co_ci_u32_e32 v11, vcc_lo, 0, v12, vcc_lo
	v_add_co_u32 v9, vcc_lo, v10, v9
	v_add_co_ci_u32_e32 v9, vcc_lo, v11, v13, vcc_lo
	v_add_co_ci_u32_e32 v10, vcc_lo, 0, v14, vcc_lo
	v_add_co_u32 v8, vcc_lo, v9, v8
	v_add_co_ci_u32_e32 v9, vcc_lo, 0, v10, vcc_lo
	v_add_co_u32 v4, vcc_lo, v4, v8
	v_add_co_ci_u32_e32 v11, vcc_lo, v7, v9, vcc_lo
	v_mul_hi_u32 v13, v5, v4
	v_mad_u64_u32 v[9:10], null, v6, v4, 0
	v_mad_u64_u32 v[7:8], null, v5, v11, 0
	;; [unrolled: 1-line block ×3, first 2 shown]
	v_add_co_u32 v4, vcc_lo, v13, v7
	v_add_co_ci_u32_e32 v7, vcc_lo, 0, v8, vcc_lo
	v_add_co_u32 v4, vcc_lo, v4, v9
	v_add_co_ci_u32_e32 v4, vcc_lo, v7, v10, vcc_lo
	v_add_co_ci_u32_e32 v7, vcc_lo, 0, v12, vcc_lo
	v_add_co_u32 v4, vcc_lo, v4, v11
	v_add_co_ci_u32_e32 v9, vcc_lo, 0, v7, vcc_lo
	v_mul_lo_u32 v10, s25, v4
	v_mad_u64_u32 v[7:8], null, s24, v4, 0
	v_mul_lo_u32 v11, s24, v9
	v_sub_co_u32 v7, vcc_lo, v5, v7
	v_add3_u32 v8, v8, v11, v10
	v_sub_nc_u32_e32 v10, v6, v8
	v_subrev_co_ci_u32_e64 v10, s0, s25, v10, vcc_lo
	v_add_co_u32 v11, s0, v4, 2
	v_add_co_ci_u32_e64 v12, s0, 0, v9, s0
	v_sub_co_u32 v13, s0, v7, s24
	v_sub_co_ci_u32_e32 v8, vcc_lo, v6, v8, vcc_lo
	v_subrev_co_ci_u32_e64 v10, s0, 0, v10, s0
	v_cmp_le_u32_e32 vcc_lo, s24, v13
	v_cmp_eq_u32_e64 s0, s25, v8
	v_cndmask_b32_e64 v13, 0, -1, vcc_lo
	v_cmp_le_u32_e32 vcc_lo, s25, v10
	v_cndmask_b32_e64 v14, 0, -1, vcc_lo
	v_cmp_le_u32_e32 vcc_lo, s24, v7
	;; [unrolled: 2-line block ×3, first 2 shown]
	v_cndmask_b32_e64 v15, 0, -1, vcc_lo
	v_cmp_eq_u32_e32 vcc_lo, s25, v10
	v_cndmask_b32_e64 v7, v15, v7, s0
	v_cndmask_b32_e32 v10, v14, v13, vcc_lo
	v_add_co_u32 v13, vcc_lo, v4, 1
	v_add_co_ci_u32_e32 v14, vcc_lo, 0, v9, vcc_lo
	v_cmp_ne_u32_e32 vcc_lo, 0, v10
	v_cndmask_b32_e32 v8, v14, v12, vcc_lo
	v_cndmask_b32_e32 v10, v13, v11, vcc_lo
	v_cmp_ne_u32_e32 vcc_lo, 0, v7
	v_cndmask_b32_e32 v67, v9, v8, vcc_lo
	v_cndmask_b32_e32 v66, v4, v10, vcc_lo
.LBB0_4:                                ;   in Loop: Header=BB0_2 Depth=1
	s_andn2_saveexec_b32 s0, s1
	s_cbranch_execz .LBB0_6
; %bb.5:                                ;   in Loop: Header=BB0_2 Depth=1
	v_cvt_f32_u32_e32 v4, s24
	s_sub_i32 s1, 0, s24
	v_mov_b32_e32 v67, v3
	v_rcp_iflag_f32_e32 v4, v4
	v_mul_f32_e32 v4, 0x4f7ffffe, v4
	v_cvt_u32_f32_e32 v4, v4
	v_mul_lo_u32 v7, s1, v4
	v_mul_hi_u32 v7, v4, v7
	v_add_nc_u32_e32 v4, v4, v7
	v_mul_hi_u32 v4, v5, v4
	v_mul_lo_u32 v7, v4, s24
	v_add_nc_u32_e32 v8, 1, v4
	v_sub_nc_u32_e32 v7, v5, v7
	v_subrev_nc_u32_e32 v9, s24, v7
	v_cmp_le_u32_e32 vcc_lo, s24, v7
	v_cndmask_b32_e32 v7, v7, v9, vcc_lo
	v_cndmask_b32_e32 v4, v4, v8, vcc_lo
	v_cmp_le_u32_e32 vcc_lo, s24, v7
	v_add_nc_u32_e32 v8, 1, v4
	v_cndmask_b32_e32 v66, v4, v8, vcc_lo
.LBB0_6:                                ;   in Loop: Header=BB0_2 Depth=1
	s_or_b32 exec_lo, exec_lo, s0
	v_mul_lo_u32 v4, v67, s24
	v_mul_lo_u32 v9, v66, s25
	s_load_dwordx2 s[0:1], s[6:7], 0x0
	v_mad_u64_u32 v[7:8], null, v66, s24, 0
	s_load_dwordx2 s[24:25], s[2:3], 0x0
	s_add_u32 s22, s22, 1
	s_addc_u32 s23, s23, 0
	s_add_u32 s2, s2, 8
	s_addc_u32 s3, s3, 0
	s_add_u32 s6, s6, 8
	v_add3_u32 v4, v8, v9, v4
	v_sub_co_u32 v5, vcc_lo, v5, v7
	s_addc_u32 s7, s7, 0
	s_add_u32 s20, s20, 8
	v_sub_co_ci_u32_e32 v4, vcc_lo, v6, v4, vcc_lo
	s_addc_u32 s21, s21, 0
	s_waitcnt lgkmcnt(0)
	v_mul_lo_u32 v6, s0, v4
	v_mul_lo_u32 v7, s1, v5
	v_mad_u64_u32 v[1:2], null, s0, v5, v[1:2]
	v_mul_lo_u32 v4, s24, v4
	v_mul_lo_u32 v8, s25, v5
	v_mad_u64_u32 v[64:65], null, s24, v5, v[64:65]
	v_cmp_ge_u64_e64 s0, s[22:23], s[14:15]
	v_add3_u32 v2, v7, v2, v6
	v_add3_u32 v65, v8, v65, v4
	s_and_b32 vcc_lo, exec_lo, s0
	s_cbranch_vccnz .LBB0_9
; %bb.7:                                ;   in Loop: Header=BB0_2 Depth=1
	v_mov_b32_e32 v5, v66
	v_mov_b32_e32 v6, v67
	s_branch .LBB0_2
.LBB0_8:
	v_mov_b32_e32 v65, v2
	v_mov_b32_e32 v67, v6
	;; [unrolled: 1-line block ×4, first 2 shown]
.LBB0_9:
	s_load_dwordx2 s[0:1], s[4:5], 0x28
	v_mul_hi_u32 v3, 0x13b13b2, v0
	s_lshl_b64 s[4:5], s[14:15], 3
                                        ; implicit-def: $vgpr68
	s_add_u32 s2, s18, s4
	s_addc_u32 s3, s19, s5
	s_waitcnt lgkmcnt(0)
	v_cmp_gt_u64_e32 vcc_lo, s[0:1], v[66:67]
	v_cmp_le_u64_e64 s0, s[0:1], v[66:67]
	s_and_saveexec_b32 s1, s0
	s_xor_b32 s0, exec_lo, s1
; %bb.10:
	v_mul_u32_u24_e32 v1, 0xd0, v3
                                        ; implicit-def: $vgpr3
	v_sub_nc_u32_e32 v68, v0, v1
                                        ; implicit-def: $vgpr0
                                        ; implicit-def: $vgpr1_vgpr2
; %bb.11:
	s_or_saveexec_b32 s1, s0
	s_load_dwordx2 s[2:3], s[2:3], 0x0
	s_xor_b32 exec_lo, exec_lo, s1
	s_cbranch_execz .LBB0_15
; %bb.12:
	s_add_u32 s4, s16, s4
	s_addc_u32 s5, s17, s5
	v_lshlrev_b64 v[1:2], 4, v[1:2]
	s_load_dwordx2 s[4:5], s[4:5], 0x0
	s_waitcnt lgkmcnt(0)
	v_mul_lo_u32 v6, s5, v66
	v_mul_lo_u32 v7, s4, v67
	v_mad_u64_u32 v[4:5], null, s4, v66, 0
	s_mov_b32 s4, exec_lo
	v_add3_u32 v5, v5, v7, v6
	v_mul_u32_u24_e32 v6, 0xd0, v3
	v_lshlrev_b64 v[3:4], 4, v[4:5]
	v_sub_nc_u32_e32 v68, v0, v6
	v_lshlrev_b32_e32 v22, 4, v68
	v_add_co_u32 v0, s0, s8, v3
	v_add_co_ci_u32_e64 v3, s0, s9, v4, s0
	v_add_co_u32 v0, s0, v0, v1
	v_add_co_ci_u32_e64 v1, s0, v3, v2, s0
	;; [unrolled: 2-line block ×3, first 2 shown]
	v_add_nc_u32_e32 v22, 0, v22
	v_add_co_u32 v6, s0, 0x800, v2
	v_add_co_ci_u32_e64 v7, s0, 0, v3, s0
	v_add_co_u32 v10, s0, 0x1800, v2
	v_add_co_ci_u32_e64 v11, s0, 0, v3, s0
	;; [unrolled: 2-line block ×4, first 2 shown]
	s_clause 0x4
	global_load_dwordx4 v[2:5], v[2:3], off
	global_load_dwordx4 v[6:9], v[6:7], off offset:1280
	global_load_dwordx4 v[10:13], v[10:11], off offset:512
	;; [unrolled: 1-line block ×4, first 2 shown]
	s_waitcnt vmcnt(4)
	ds_write_b128 v22, v[2:5]
	s_waitcnt vmcnt(3)
	ds_write_b128 v22, v[6:9] offset:3328
	s_waitcnt vmcnt(2)
	ds_write_b128 v22, v[10:13] offset:6656
	s_waitcnt vmcnt(1)
	ds_write_b128 v22, v[14:17] offset:9984
	s_waitcnt vmcnt(0)
	ds_write_b128 v22, v[18:21] offset:13312
	v_cmpx_eq_u32_e32 0xcf, v68
	s_cbranch_execz .LBB0_14
; %bb.13:
	v_add_co_u32 v0, s0, 0x4000, v0
	v_add_co_ci_u32_e64 v1, s0, 0, v1, s0
	v_mov_b32_e32 v4, 0
	v_mov_b32_e32 v68, 0xcf
	global_load_dwordx4 v[0:3], v[0:1], off offset:256
	s_waitcnt vmcnt(0)
	ds_write_b128 v4, v[0:3] offset:16640
.LBB0_14:
	s_or_b32 exec_lo, exec_lo, s4
.LBB0_15:
	s_or_b32 exec_lo, exec_lo, s1
	v_lshlrev_b32_e32 v0, 4, v68
	s_waitcnt lgkmcnt(0)
	s_barrier
	buffer_gl0_inv
	s_add_u32 s1, s12, 0x4030
	v_add_nc_u32_e32 v70, 0, v0
	v_sub_nc_u32_e32 v4, 0, v0
	s_addc_u32 s4, s13, 0
	s_mov_b32 s5, exec_lo
	ds_read_b64 v[2:3], v70
	ds_read_b64 v[5:6], v4 offset:16640
	s_waitcnt lgkmcnt(0)
	v_add_f64 v[0:1], v[2:3], v[5:6]
	v_add_f64 v[2:3], v[2:3], -v[5:6]
	v_cmpx_ne_u32_e32 0, v68
	s_xor_b32 s5, exec_lo, s5
	s_cbranch_execz .LBB0_17
; %bb.16:
	v_mov_b32_e32 v69, 0
	v_lshlrev_b64 v[5:6], 4, v[68:69]
	v_add_co_u32 v5, s0, s1, v5
	v_add_co_ci_u32_e64 v6, s0, s4, v6, s0
	global_load_dwordx4 v[5:8], v[5:6], off
	ds_read_b64 v[9:10], v4 offset:16648
	ds_read_b64 v[11:12], v70 offset:8
	s_waitcnt lgkmcnt(0)
	v_add_f64 v[13:14], v[9:10], v[11:12]
	v_add_f64 v[9:10], v[11:12], -v[9:10]
	s_waitcnt vmcnt(0)
	v_fma_f64 v[11:12], v[2:3], v[7:8], v[0:1]
	v_fma_f64 v[15:16], v[13:14], v[7:8], v[9:10]
	v_fma_f64 v[0:1], -v[2:3], v[7:8], v[0:1]
	v_fma_f64 v[17:18], v[13:14], v[7:8], -v[9:10]
	v_fma_f64 v[7:8], -v[13:14], v[5:6], v[11:12]
	v_fma_f64 v[9:10], v[2:3], v[5:6], v[15:16]
	v_fma_f64 v[0:1], v[13:14], v[5:6], v[0:1]
	;; [unrolled: 1-line block ×3, first 2 shown]
	ds_write_b128 v70, v[7:10]
	ds_write_b128 v4, v[0:3] offset:16640
                                        ; implicit-def: $vgpr0_vgpr1
.LBB0_17:
	s_andn2_saveexec_b32 s0, s5
	s_cbranch_execz .LBB0_19
; %bb.18:
	v_mov_b32_e32 v5, 0
	ds_write_b128 v70, v[0:3]
	ds_read_b128 v[0:3], v5 offset:8320
	s_waitcnt lgkmcnt(0)
	v_add_f64 v[0:1], v[0:1], v[0:1]
	v_mul_f64 v[2:3], v[2:3], -2.0
	ds_write_b128 v5, v[0:3] offset:8320
.LBB0_19:
	s_or_b32 exec_lo, exec_lo, s0
	v_add_nc_u32_e32 v0, 0xd0, v68
	v_mov_b32_e32 v1, 0
	s_mov_b32 s5, exec_lo
	v_lshlrev_b64 v[2:3], 4, v[0:1]
	v_add_co_u32 v2, s0, s1, v2
	v_add_co_ci_u32_e64 v3, s0, s4, v3, s0
	global_load_dwordx4 v[5:8], v[2:3], off
	ds_read_b128 v[9:12], v70 offset:3328
	ds_read_b128 v[13:16], v4 offset:13312
	s_waitcnt lgkmcnt(0)
	v_add_f64 v[2:3], v[9:10], v[13:14]
	v_add_f64 v[17:18], v[15:16], v[11:12]
	v_add_f64 v[13:14], v[9:10], -v[13:14]
	v_add_f64 v[9:10], v[11:12], -v[15:16]
	s_waitcnt vmcnt(0)
	v_fma_f64 v[11:12], v[13:14], v[7:8], v[2:3]
	v_fma_f64 v[15:16], v[17:18], v[7:8], v[9:10]
	v_fma_f64 v[2:3], -v[13:14], v[7:8], v[2:3]
	v_fma_f64 v[19:20], v[17:18], v[7:8], -v[9:10]
	v_fma_f64 v[7:8], -v[17:18], v[5:6], v[11:12]
	v_fma_f64 v[9:10], v[13:14], v[5:6], v[15:16]
	v_fma_f64 v[11:12], v[17:18], v[5:6], v[2:3]
	v_fma_f64 v[13:14], v[13:14], v[5:6], v[19:20]
	ds_write_b128 v70, v[7:10] offset:3328
	ds_write_b128 v4, v[11:14] offset:13312
	v_cmpx_gt_u32_e32 0x68, v68
	s_cbranch_execz .LBB0_21
; %bb.20:
	v_add_nc_u32_e32 v0, 0x1a0, v68
	v_lshlrev_b64 v[0:1], 4, v[0:1]
	v_add_co_u32 v0, s0, s1, v0
	v_add_co_ci_u32_e64 v1, s0, s4, v1, s0
	global_load_dwordx4 v[0:3], v[0:1], off
	ds_read_b128 v[5:8], v70 offset:6656
	ds_read_b128 v[9:12], v4 offset:9984
	s_waitcnt lgkmcnt(0)
	v_add_f64 v[13:14], v[5:6], v[9:10]
	v_add_f64 v[15:16], v[11:12], v[7:8]
	v_add_f64 v[17:18], v[5:6], -v[9:10]
	v_add_f64 v[5:6], v[7:8], -v[11:12]
	s_waitcnt vmcnt(0)
	v_fma_f64 v[7:8], v[17:18], v[2:3], v[13:14]
	v_fma_f64 v[9:10], v[15:16], v[2:3], v[5:6]
	v_fma_f64 v[11:12], -v[17:18], v[2:3], v[13:14]
	v_fma_f64 v[2:3], v[15:16], v[2:3], -v[5:6]
	v_fma_f64 v[5:6], -v[15:16], v[0:1], v[7:8]
	v_fma_f64 v[7:8], v[17:18], v[0:1], v[9:10]
	v_fma_f64 v[9:10], v[15:16], v[0:1], v[11:12]
	v_fma_f64 v[11:12], v[17:18], v[0:1], v[2:3]
	ds_write_b128 v70, v[5:8] offset:6656
	ds_write_b128 v4, v[9:12] offset:9984
.LBB0_21:
	s_or_b32 exec_lo, exec_lo, s5
	s_waitcnt lgkmcnt(0)
	s_barrier
	buffer_gl0_inv
	s_barrier
	buffer_gl0_inv
	ds_read_b128 v[4:7], v70
	ds_read_b128 v[20:23], v70 offset:1280
	ds_read_b128 v[24:27], v70 offset:2560
	;; [unrolled: 1-line block ×5, first 2 shown]
	s_mov_b32 s14, 0x4267c47c
	s_mov_b32 s16, 0xe00740e9
	;; [unrolled: 1-line block ×17, first 2 shown]
	s_waitcnt lgkmcnt(4)
	v_add_f64 v[0:1], v[4:5], v[20:21]
	v_add_f64 v[2:3], v[6:7], v[22:23]
	s_mov_b32 s20, 0xb2365da1
	s_mov_b32 s5, 0xbfedeba7
	;; [unrolled: 1-line block ×19, first 2 shown]
	s_waitcnt lgkmcnt(3)
	v_add_f64 v[0:1], v[0:1], v[24:25]
	v_add_f64 v[2:3], v[2:3], v[26:27]
	s_waitcnt lgkmcnt(2)
	v_add_f64 v[0:1], v[0:1], v[16:17]
	v_add_f64 v[2:3], v[2:3], v[18:19]
	;; [unrolled: 3-line block ×4, first 2 shown]
	ds_read_b128 v[0:3], v70 offset:7680
	ds_read_b128 v[50:53], v70 offset:15360
	;; [unrolled: 1-line block ×7, first 2 shown]
	s_waitcnt lgkmcnt(0)
	s_barrier
	buffer_gl0_inv
	v_add_f64 v[48:49], v[22:23], -v[52:53]
	v_add_f64 v[28:29], v[28:29], v[0:1]
	v_add_f64 v[30:31], v[30:31], v[2:3]
	;; [unrolled: 1-line block ×4, first 2 shown]
	v_add_f64 v[81:82], v[20:21], -v[50:51]
	v_add_f64 v[20:21], v[18:19], v[60:61]
	v_add_f64 v[18:19], v[18:19], -v[60:61]
	v_add_f64 v[40:41], v[10:11], v[36:37]
	;; [unrolled: 2-line block ×4, first 2 shown]
	v_add_f64 v[12:13], v[12:13], -v[75:76]
	v_add_f64 v[10:11], v[0:1], -v[54:55]
	v_mul_f64 v[83:84], v[48:49], s[14:15]
	v_add_f64 v[22:23], v[28:29], v[54:55]
	v_add_f64 v[32:33], v[30:31], v[56:57]
	v_add_f64 v[30:31], v[26:27], -v[73:74]
	v_add_f64 v[28:29], v[26:27], v[73:74]
	v_mul_f64 v[85:86], v[62:63], s[16:17]
	v_add_f64 v[26:27], v[24:25], v[71:72]
	v_mul_f64 v[97:98], v[18:19], s[0:1]
	v_mul_f64 v[99:100], v[20:21], s[18:19]
	;; [unrolled: 1-line block ×5, first 2 shown]
	v_add_f64 v[38:39], v[22:23], v[75:76]
	v_add_f64 v[32:33], v[32:33], v[77:78]
	v_add_f64 v[22:23], v[24:25], -v[71:72]
	v_mul_f64 v[87:88], v[30:31], s[6:7]
	v_mul_f64 v[89:90], v[28:29], s[22:23]
	v_fma_f64 v[24:25], v[79:80], s[16:17], v[83:84]
	v_fma_f64 v[91:92], v[81:82], s[26:27], v[85:86]
	v_mul_f64 v[75:76], v[40:41], s[20:21]
	v_fma_f64 v[85:86], v[81:82], s[14:15], v[85:86]
	v_mul_f64 v[129:130], v[28:29], s[20:21]
	v_add_f64 v[93:94], v[38:39], v[34:35]
	v_add_f64 v[95:96], v[32:33], v[36:37]
	;; [unrolled: 1-line block ×3, first 2 shown]
	v_fma_f64 v[101:102], v[26:27], s[22:23], v[87:88]
	v_fma_f64 v[105:106], v[22:23], s[36:37], v[89:90]
	v_add_f64 v[103:104], v[4:5], v[24:25]
	v_add_f64 v[91:92], v[6:7], v[91:92]
	v_add_f64 v[34:35], v[8:9], -v[34:35]
	v_add_f64 v[36:37], v[14:15], v[77:78]
	v_add_f64 v[38:39], v[14:15], -v[77:78]
	;; [unrolled: 2-line block ×3, first 2 shown]
	v_mul_f64 v[56:57], v[42:43], s[4:5]
	v_fma_f64 v[77:78], v[44:45], s[18:19], v[97:98]
	v_add_f64 v[8:9], v[0:1], v[54:55]
	v_mul_f64 v[0:1], v[48:49], s[6:7]
	v_mul_f64 v[2:3], v[48:49], s[0:1]
	;; [unrolled: 1-line block ×3, first 2 shown]
	v_add_f64 v[85:86], v[6:7], v[85:86]
	v_fma_f64 v[87:88], v[26:27], s[22:23], -v[87:88]
	v_fma_f64 v[89:90], v[22:23], s[6:7], v[89:90]
	v_fma_f64 v[97:98], v[44:45], s[18:19], -v[97:98]
	v_add_f64 v[58:59], v[93:94], v[58:59]
	v_add_f64 v[60:61], v[95:96], v[60:61]
	v_fma_f64 v[95:96], v[46:47], s[30:31], v[99:100]
	v_fma_f64 v[99:100], v[46:47], s[0:1], v[99:100]
	v_add_f64 v[93:94], v[101:102], v[103:104]
	v_add_f64 v[91:92], v[105:106], v[91:92]
	v_mul_f64 v[101:102], v[62:63], s[22:23]
	v_mul_f64 v[103:104], v[48:49], s[8:9]
	;; [unrolled: 1-line block ×5, first 2 shown]
	v_fma_f64 v[123:124], v[32:33], s[20:21], v[56:57]
	v_mul_f64 v[48:49], v[24:25], s[28:29]
	v_fma_f64 v[56:57], v[32:33], s[20:21], -v[56:57]
	v_fma_f64 v[115:116], v[79:80], s[22:23], -v[0:1]
	v_fma_f64 v[117:118], v[79:80], s[18:19], v[2:3]
	v_fma_f64 v[119:120], v[79:80], s[18:19], -v[2:3]
	v_fma_f64 v[121:122], v[79:80], s[20:21], v[54:55]
	v_fma_f64 v[54:55], v[79:80], s[20:21], -v[54:55]
	v_add_f64 v[85:86], v[89:90], v[85:86]
	v_mul_f64 v[89:90], v[28:29], s[40:41]
	v_add_f64 v[58:59], v[58:59], v[71:72]
	v_add_f64 v[60:61], v[60:61], v[73:74]
	v_mul_f64 v[71:72], v[36:37], s[24:25]
	v_fma_f64 v[73:74], v[79:80], s[16:17], -v[83:84]
	v_fma_f64 v[83:84], v[79:80], s[22:23], v[0:1]
	v_add_f64 v[77:78], v[77:78], v[93:94]
	v_fma_f64 v[93:94], v[34:35], s[34:35], v[75:76]
	v_add_f64 v[91:92], v[95:96], v[91:92]
	v_fma_f64 v[95:96], v[81:82], s[36:37], v[101:102]
	v_fma_f64 v[125:126], v[79:80], s[24:25], v[103:104]
	;; [unrolled: 1-line block ×3, first 2 shown]
	v_fma_f64 v[103:104], v[79:80], s[24:25], -v[103:104]
	v_fma_f64 v[127:128], v[81:82], s[30:31], v[105:106]
	v_fma_f64 v[105:106], v[81:82], s[0:1], v[105:106]
	;; [unrolled: 1-line block ×3, first 2 shown]
	v_add_f64 v[115:116], v[4:5], v[115:116]
	v_add_f64 v[117:118], v[4:5], v[117:118]
	;; [unrolled: 1-line block ×6, first 2 shown]
	v_mul_f64 v[99:100], v[20:21], s[20:21]
	v_add_f64 v[0:1], v[58:59], v[50:51]
	v_add_f64 v[2:3], v[60:61], v[52:53]
	v_fma_f64 v[50:51], v[81:82], s[34:35], v[107:108]
	v_fma_f64 v[52:53], v[79:80], s[40:41], v[109:110]
	;; [unrolled: 1-line block ×3, first 2 shown]
	v_fma_f64 v[60:61], v[79:80], s[40:41], -v[109:110]
	v_fma_f64 v[79:80], v[81:82], s[38:39], v[111:112]
	v_fma_f64 v[107:108], v[81:82], s[8:9], v[111:112]
	;; [unrolled: 1-line block ×5, first 2 shown]
	v_add_f64 v[77:78], v[123:124], v[77:78]
	v_fma_f64 v[111:112], v[12:13], s[38:39], v[71:72]
	v_add_f64 v[91:92], v[93:94], v[91:92]
	v_mul_f64 v[93:94], v[14:15], s[40:41]
	v_add_f64 v[73:74], v[4:5], v[73:74]
	v_add_f64 v[123:124], v[6:7], v[127:128]
	v_mul_f64 v[127:128], v[30:31], s[4:5]
	v_add_f64 v[83:84], v[4:5], v[83:84]
	v_add_f64 v[95:96], v[6:7], v[95:96]
	;; [unrolled: 1-line block ×16, first 2 shown]
	v_fma_f64 v[81:82], v[8:9], s[40:41], v[48:49]
	v_add_f64 v[91:92], v[111:112], v[91:92]
	v_fma_f64 v[111:112], v[10:11], s[42:43], v[93:94]
	v_add_f64 v[73:74], v[87:88], v[73:74]
	v_fma_f64 v[87:88], v[22:23], s[34:35], v[129:130]
	v_mul_f64 v[85:86], v[36:37], s[18:19]
	v_fma_f64 v[113:114], v[16:17], s[24:25], -v[113:114]
	v_fma_f64 v[71:72], v[12:13], s[8:9], v[71:72]
	v_add_f64 v[4:5], v[81:82], v[77:78]
	v_mul_f64 v[77:78], v[30:31], s[28:29]
	v_add_f64 v[6:7], v[111:112], v[91:92]
	v_fma_f64 v[81:82], v[26:27], s[20:21], v[127:128]
	v_fma_f64 v[91:92], v[26:27], s[20:21], -v[127:128]
	v_fma_f64 v[111:112], v[22:23], s[4:5], v[129:130]
	v_add_f64 v[87:88], v[87:88], v[95:96]
	v_add_f64 v[73:74], v[97:98], v[73:74]
	;; [unrolled: 1-line block ×3, first 2 shown]
	v_mul_f64 v[75:76], v[38:39], s[6:7]
	v_fma_f64 v[95:96], v[26:27], s[40:41], v[77:78]
	v_fma_f64 v[77:78], v[26:27], s[40:41], -v[77:78]
	v_add_f64 v[81:82], v[81:82], v[83:84]
	v_mul_f64 v[83:84], v[18:19], s[28:29]
	v_add_f64 v[91:92], v[91:92], v[115:116]
	v_fma_f64 v[115:116], v[22:23], s[42:43], v[89:90]
	v_add_f64 v[101:102], v[111:112], v[101:102]
	v_mul_f64 v[111:112], v[20:21], s[40:41]
	v_add_f64 v[56:57], v[56:57], v[73:74]
	v_mul_f64 v[73:74], v[38:39], s[30:31]
	v_fma_f64 v[89:90], v[22:23], s[28:29], v[89:90]
	v_add_f64 v[95:96], v[95:96], v[117:118]
	v_mul_f64 v[117:118], v[18:19], s[34:35]
	v_add_f64 v[77:78], v[77:78], v[119:120]
	v_mul_f64 v[119:120], v[28:29], s[24:25]
	v_add_f64 v[115:116], v[115:116], v[123:124]
	v_fma_f64 v[123:124], v[44:45], s[40:41], v[83:84]
	v_fma_f64 v[97:98], v[46:47], s[42:43], v[111:112]
	v_fma_f64 v[83:84], v[44:45], s[40:41], -v[83:84]
	v_fma_f64 v[111:112], v[46:47], s[28:29], v[111:112]
	v_add_f64 v[56:57], v[113:114], v[56:57]
	v_add_f64 v[89:90], v[89:90], v[105:106]
	v_mul_f64 v[105:106], v[30:31], s[38:39]
	v_add_f64 v[81:82], v[123:124], v[81:82]
	v_fma_f64 v[123:124], v[44:45], s[20:21], v[117:118]
	v_add_f64 v[87:88], v[97:98], v[87:88]
	v_mul_f64 v[97:98], v[42:43], s[38:39]
	v_add_f64 v[83:84], v[83:84], v[91:92]
	v_fma_f64 v[91:92], v[46:47], s[4:5], v[99:100]
	v_add_f64 v[101:102], v[111:112], v[101:102]
	v_mul_f64 v[111:112], v[40:41], s[24:25]
	v_fma_f64 v[117:118], v[44:45], s[20:21], -v[117:118]
	v_fma_f64 v[99:100], v[46:47], s[34:35], v[99:100]
	v_add_f64 v[95:96], v[123:124], v[95:96]
	v_fma_f64 v[123:124], v[32:33], s[24:25], v[97:98]
	v_fma_f64 v[97:98], v[32:33], s[24:25], -v[97:98]
	v_add_f64 v[91:92], v[91:92], v[115:116]
	v_fma_f64 v[115:116], v[34:35], s[8:9], v[111:112]
	v_fma_f64 v[111:112], v[34:35], s[38:39], v[111:112]
	v_add_f64 v[77:78], v[117:118], v[77:78]
	v_mul_f64 v[117:118], v[18:19], s[26:27]
	v_add_f64 v[89:90], v[99:100], v[89:90]
	v_mul_f64 v[99:100], v[36:37], s[22:23]
	;; [unrolled: 2-line block ×3, first 2 shown]
	v_add_f64 v[83:84], v[97:98], v[83:84]
	v_fma_f64 v[97:98], v[16:17], s[18:19], v[73:74]
	v_add_f64 v[87:88], v[115:116], v[87:88]
	v_mul_f64 v[115:116], v[40:41], s[16:17]
	v_add_f64 v[101:102], v[111:112], v[101:102]
	v_fma_f64 v[111:112], v[12:13], s[0:1], v[85:86]
	v_fma_f64 v[73:74], v[16:17], s[18:19], -v[73:74]
	v_fma_f64 v[85:86], v[12:13], s[30:31], v[85:86]
	v_fma_f64 v[113:114], v[32:33], s[16:17], v[123:124]
	v_add_f64 v[81:82], v[97:98], v[81:82]
	v_fma_f64 v[97:98], v[16:17], s[22:23], v[75:76]
	v_fma_f64 v[75:76], v[16:17], s[22:23], -v[75:76]
	v_add_f64 v[87:88], v[111:112], v[87:88]
	v_add_f64 v[73:74], v[73:74], v[83:84]
	;; [unrolled: 1-line block ×3, first 2 shown]
	v_fma_f64 v[101:102], v[32:33], s[16:17], -v[123:124]
	v_fma_f64 v[111:112], v[26:27], s[24:25], v[105:106]
	v_mul_f64 v[123:124], v[20:21], s[16:17]
	v_fma_f64 v[105:106], v[26:27], s[24:25], -v[105:106]
	v_add_f64 v[85:86], v[113:114], v[95:96]
	v_fma_f64 v[95:96], v[34:35], s[14:15], v[115:116]
	v_fma_f64 v[113:114], v[22:23], s[8:9], v[119:120]
	;; [unrolled: 1-line block ×3, first 2 shown]
	v_add_f64 v[77:78], v[101:102], v[77:78]
	v_fma_f64 v[101:102], v[46:47], s[14:15], v[123:124]
	v_add_f64 v[54:55], v[105:106], v[54:55]
	v_fma_f64 v[105:106], v[22:23], s[38:39], v[119:120]
	v_mul_f64 v[119:120], v[28:29], s[18:19]
	v_mul_f64 v[28:29], v[28:29], s[16:17]
	v_add_f64 v[85:86], v[97:98], v[85:86]
	v_add_f64 v[91:92], v[95:96], v[91:92]
	v_add_f64 v[95:96], v[111:112], v[121:122]
	v_add_f64 v[50:51], v[113:114], v[50:51]
	v_fma_f64 v[97:98], v[44:45], s[16:17], v[117:118]
	v_mul_f64 v[111:112], v[42:43], s[0:1]
	v_mul_f64 v[113:114], v[40:41], s[18:19]
	v_fma_f64 v[121:122], v[12:13], s[36:37], v[99:100]
	v_add_f64 v[89:90], v[115:116], v[89:90]
	v_mul_f64 v[115:116], v[30:31], s[30:31]
	v_fma_f64 v[99:100], v[12:13], s[6:7], v[99:100]
	v_fma_f64 v[117:118], v[44:45], s[16:17], -v[117:118]
	v_add_f64 v[75:76], v[75:76], v[77:78]
	v_mul_f64 v[30:31], v[30:31], s[26:27]
	v_add_f64 v[58:59], v[105:106], v[58:59]
	v_fma_f64 v[105:106], v[22:23], s[0:1], v[119:120]
	v_fma_f64 v[119:120], v[22:23], s[30:31], v[119:120]
	v_add_f64 v[50:51], v[101:102], v[50:51]
	v_add_f64 v[95:96], v[97:98], v[95:96]
	v_fma_f64 v[97:98], v[32:33], s[18:19], v[111:112]
	v_fma_f64 v[101:102], v[34:35], s[30:31], v[113:114]
	v_add_f64 v[91:92], v[121:122], v[91:92]
	v_mul_f64 v[121:122], v[18:19], s[6:7]
	v_fma_f64 v[77:78], v[26:27], s[18:19], v[115:116]
	v_add_f64 v[89:90], v[99:100], v[89:90]
	v_mul_f64 v[99:100], v[36:37], s[40:41]
	v_add_f64 v[54:55], v[117:118], v[54:55]
	v_fma_f64 v[115:116], v[26:27], s[18:19], -v[115:116]
	v_mul_f64 v[18:19], v[18:19], s[8:9]
	v_add_f64 v[79:80], v[105:106], v[79:80]
	v_fma_f64 v[111:112], v[32:33], s[18:19], -v[111:112]
	v_fma_f64 v[113:114], v[34:35], s[0:1], v[113:114]
	v_add_f64 v[107:108], v[119:120], v[107:108]
	v_add_f64 v[95:96], v[97:98], v[95:96]
	;; [unrolled: 1-line block ×3, first 2 shown]
	v_mul_f64 v[97:98], v[38:39], s[42:43]
	v_fma_f64 v[101:102], v[46:47], s[26:27], v[123:124]
	v_add_f64 v[77:78], v[77:78], v[125:126]
	v_fma_f64 v[117:118], v[44:45], s[22:23], v[121:122]
	v_mul_f64 v[123:124], v[20:21], s[22:23]
	v_fma_f64 v[125:126], v[26:27], s[16:17], v[30:31]
	v_fma_f64 v[26:27], v[26:27], s[16:17], -v[30:31]
	v_fma_f64 v[30:31], v[22:23], s[14:15], v[28:29]
	v_fma_f64 v[22:23], v[22:23], s[26:27], v[28:29]
	v_mul_f64 v[28:29], v[42:43], s[42:43]
	v_mul_f64 v[20:21], v[20:21], s[24:25]
	v_fma_f64 v[105:106], v[12:13], s[28:29], v[99:100]
	v_add_f64 v[103:104], v[115:116], v[103:104]
	v_fma_f64 v[119:120], v[44:45], s[22:23], -v[121:122]
	v_mul_f64 v[42:43], v[42:43], s[36:37]
	v_add_f64 v[58:59], v[101:102], v[58:59]
	v_fma_f64 v[101:102], v[16:17], s[40:41], v[97:98]
	v_add_f64 v[77:78], v[117:118], v[77:78]
	v_fma_f64 v[117:118], v[46:47], s[36:37], v[123:124]
	v_fma_f64 v[121:122], v[46:47], s[6:7], v[123:124]
	v_mul_f64 v[123:124], v[40:41], s[40:41]
	v_add_f64 v[52:53], v[125:126], v[52:53]
	v_mul_f64 v[125:126], v[38:39], s[26:27]
	v_fma_f64 v[115:116], v[32:33], s[40:41], v[28:29]
	v_add_f64 v[30:31], v[30:31], v[109:110]
	v_add_f64 v[26:27], v[26:27], v[60:61]
	v_fma_f64 v[60:61], v[44:45], s[24:25], v[18:19]
	v_fma_f64 v[109:110], v[46:47], s[38:39], v[20:21]
	v_add_f64 v[22:23], v[22:23], v[62:63]
	v_fma_f64 v[18:19], v[44:45], s[24:25], -v[18:19]
	v_fma_f64 v[20:21], v[46:47], s[8:9], v[20:21]
	v_mul_f64 v[40:41], v[40:41], s[22:23]
	v_add_f64 v[46:47], v[105:106], v[50:51]
	v_add_f64 v[50:51], v[111:112], v[54:55]
	v_mul_f64 v[105:106], v[36:37], s[16:17]
	v_fma_f64 v[28:29], v[32:33], s[40:41], -v[28:29]
	v_mul_f64 v[38:39], v[38:39], s[4:5]
	v_add_f64 v[54:55], v[113:114], v[58:59]
	v_add_f64 v[44:45], v[101:102], v[95:96]
	v_fma_f64 v[95:96], v[12:13], s[42:43], v[99:100]
	v_add_f64 v[58:59], v[117:118], v[79:80]
	v_add_f64 v[101:102], v[121:122], v[107:108]
	v_fma_f64 v[99:100], v[34:35], s[28:29], v[123:124]
	v_mul_f64 v[36:37], v[36:37], s[20:21]
	v_mul_f64 v[79:80], v[24:25], s[26:27]
	v_add_f64 v[62:63], v[115:116], v[77:78]
	v_fma_f64 v[77:78], v[16:17], s[40:41], -v[97:98]
	v_add_f64 v[97:98], v[119:120], v[103:104]
	v_fma_f64 v[103:104], v[16:17], s[16:17], v[125:126]
	v_add_f64 v[52:53], v[60:61], v[52:53]
	v_add_f64 v[30:31], v[109:110], v[30:31]
	v_fma_f64 v[60:61], v[34:35], s[42:43], v[123:124]
	v_add_f64 v[18:19], v[18:19], v[26:27]
	v_add_f64 v[20:21], v[20:21], v[22:23]
	v_fma_f64 v[22:23], v[32:33], s[22:23], v[42:43]
	v_fma_f64 v[26:27], v[34:35], s[6:7], v[40:41]
	v_fma_f64 v[32:33], v[32:33], s[22:23], -v[42:43]
	v_fma_f64 v[34:35], v[34:35], s[36:37], v[40:41]
	v_fma_f64 v[42:43], v[10:11], s[28:29], v[93:94]
	v_mul_f64 v[93:94], v[24:25], s[8:9]
	v_fma_f64 v[40:41], v[8:9], s[40:41], -v[48:49]
	v_add_f64 v[54:55], v[95:96], v[54:55]
	v_fma_f64 v[95:96], v[12:13], s[14:15], v[105:106]
	v_add_f64 v[58:59], v[99:100], v[58:59]
	v_fma_f64 v[99:100], v[16:17], s[16:17], -v[125:126]
	v_fma_f64 v[48:49], v[8:9], s[16:17], v[79:80]
	v_fma_f64 v[79:80], v[8:9], s[16:17], -v[79:80]
	v_add_f64 v[77:78], v[77:78], v[50:51]
	v_mul_f64 v[50:51], v[14:15], s[16:17]
	v_add_f64 v[62:63], v[103:104], v[62:63]
	v_add_f64 v[28:29], v[28:29], v[97:98]
	v_mul_f64 v[97:98], v[14:15], s[24:25]
	v_add_f64 v[60:61], v[60:61], v[101:102]
	v_mul_f64 v[101:102], v[24:25], s[36:37]
	v_fma_f64 v[103:104], v[12:13], s[26:27], v[105:106]
	v_add_f64 v[22:23], v[22:23], v[52:53]
	v_add_f64 v[26:27], v[26:27], v[30:31]
	v_fma_f64 v[30:31], v[16:17], s[20:21], v[38:39]
	v_mul_f64 v[52:53], v[14:15], s[22:23]
	v_add_f64 v[18:19], v[32:33], v[18:19]
	v_fma_f64 v[32:33], v[12:13], s[34:35], v[36:37]
	v_add_f64 v[20:21], v[34:35], v[20:21]
	v_mul_f64 v[34:35], v[24:25], s[4:5]
	v_fma_f64 v[16:17], v[16:17], s[20:21], -v[38:39]
	v_mul_f64 v[38:39], v[14:15], s[20:21]
	v_fma_f64 v[12:13], v[12:13], s[4:5], v[36:37]
	v_mul_f64 v[24:25], v[24:25], s[30:31]
	v_mul_f64 v[14:15], v[14:15], s[18:19]
	v_add_f64 v[58:59], v[95:96], v[58:59]
	v_fma_f64 v[95:96], v[8:9], s[24:25], v[93:94]
	v_fma_f64 v[36:37], v[10:11], s[14:15], v[50:51]
	;; [unrolled: 1-line block ×3, first 2 shown]
	v_add_f64 v[99:100], v[99:100], v[28:29]
	v_fma_f64 v[105:106], v[10:11], s[38:39], v[97:98]
	v_fma_f64 v[93:94], v[8:9], s[24:25], -v[93:94]
	v_fma_f64 v[97:98], v[10:11], s[8:9], v[97:98]
	v_add_f64 v[60:61], v[103:104], v[60:61]
	v_fma_f64 v[103:104], v[8:9], s[22:23], v[101:102]
	v_fma_f64 v[101:102], v[8:9], s[22:23], -v[101:102]
	v_add_f64 v[107:108], v[30:31], v[22:23]
	v_fma_f64 v[109:110], v[10:11], s[6:7], v[52:53]
	v_fma_f64 v[52:53], v[10:11], s[36:37], v[52:53]
	v_add_f64 v[111:112], v[32:33], v[26:27]
	v_add_f64 v[28:29], v[40:41], v[56:57]
	v_fma_f64 v[113:114], v[8:9], s[20:21], v[34:35]
	v_add_f64 v[115:116], v[16:17], v[18:19]
	v_fma_f64 v[16:17], v[10:11], s[34:35], v[38:39]
	v_fma_f64 v[18:19], v[8:9], s[20:21], -v[34:35]
	v_fma_f64 v[38:39], v[10:11], s[4:5], v[38:39]
	v_add_f64 v[117:118], v[12:13], v[20:21]
	v_fma_f64 v[119:120], v[8:9], s[18:19], v[24:25]
	v_fma_f64 v[121:122], v[10:11], s[0:1], v[14:15]
	v_fma_f64 v[123:124], v[8:9], s[18:19], -v[24:25]
	v_fma_f64 v[125:126], v[10:11], s[30:31], v[14:15]
	v_add_f64 v[30:31], v[42:43], v[71:72]
	v_add_f64 v[32:33], v[48:49], v[81:82]
	;; [unrolled: 1-line block ×17, first 2 shown]
	s_mov_b32 s1, exec_lo
	v_add_f64 v[44:45], v[119:120], v[107:108]
	v_add_f64 v[46:47], v[121:122], v[111:112]
	;; [unrolled: 1-line block ×4, first 2 shown]
	v_cmpx_gt_u32_e32 0x50, v68
	s_cbranch_execz .LBB0_23
; %bb.22:
	v_mad_u32_u24 v52, 0xc0, v68, v70
	ds_write_b128 v52, v[0:3]
	ds_write_b128 v52, v[4:7] offset:16
	ds_write_b128 v52, v[32:35] offset:32
	;; [unrolled: 1-line block ×12, first 2 shown]
.LBB0_23:
	s_or_b32 exec_lo, exec_lo, s1
	v_cmp_gt_u32_e64 s0, 0x41, v68
	s_waitcnt lgkmcnt(0)
	s_barrier
	buffer_gl0_inv
                                        ; implicit-def: $vgpr54_vgpr55
                                        ; implicit-def: $vgpr62_vgpr63
                                        ; implicit-def: $vgpr58_vgpr59
	s_and_saveexec_b32 s1, s0
	s_cbranch_execz .LBB0_25
; %bb.24:
	ds_read_b128 v[0:3], v70
	ds_read_b128 v[4:7], v70 offset:1040
	ds_read_b128 v[32:35], v70 offset:2080
	;; [unrolled: 1-line block ×15, first 2 shown]
.LBB0_25:
	s_or_b32 exec_lo, exec_lo, s1
	s_waitcnt lgkmcnt(0)
	s_barrier
	buffer_gl0_inv
	s_and_saveexec_b32 s8, s0
	s_cbranch_execz .LBB0_27
; %bb.26:
	v_and_b32_e32 v69, 0xff, v68
	v_mov_b32_e32 v72, 15
	s_mov_b32 s0, 0x667f3bcd
	s_mov_b32 s1, 0x3fe6a09e
	;; [unrolled: 1-line block ×3, first 2 shown]
	v_mul_lo_u16 v69, 0x4f, v69
	s_mov_b32 s4, s0
	s_mov_b32 s6, 0xcf328d46
	s_mov_b32 s7, 0x3fed906b
	s_mov_b32 s14, 0xa6aea964
	v_lshrrev_b16 v69, 10, v69
	s_mov_b32 s15, 0xbfd87de2
	s_mov_b32 s17, 0x3fd87de2
	;; [unrolled: 1-line block ×4, first 2 shown]
	v_mul_lo_u16 v71, v69, 13
	s_mov_b32 s18, s6
	v_sub_nc_u16 v71, v68, v71
	v_mul_u32_u24_sdwa v72, v71, v72 dst_sel:DWORD dst_unused:UNUSED_PAD src0_sel:BYTE_0 src1_sel:DWORD
	v_lshlrev_b32_e32 v124, 4, v72
	s_clause 0xa
	global_load_dwordx4 v[72:75], v124, s[12:13] offset:16
	global_load_dwordx4 v[76:79], v124, s[12:13] offset:144
	;; [unrolled: 1-line block ×5, first 2 shown]
	global_load_dwordx4 v[92:95], v124, s[12:13]
	global_load_dwordx4 v[96:99], v124, s[12:13] offset:160
	global_load_dwordx4 v[100:103], v124, s[12:13] offset:128
	;; [unrolled: 1-line block ×5, first 2 shown]
	s_waitcnt vmcnt(10)
	v_mul_f64 v[116:117], v[32:33], v[74:75]
	v_mul_f64 v[74:75], v[34:35], v[74:75]
	s_waitcnt vmcnt(9)
	v_mul_f64 v[118:119], v[48:49], v[78:79]
	v_mul_f64 v[78:79], v[50:51], v[78:79]
	v_fma_f64 v[116:117], v[34:35], v[72:73], -v[116:117]
	v_fma_f64 v[120:121], v[32:33], v[72:73], v[74:75]
	s_clause 0x1
	global_load_dwordx4 v[32:35], v124, s[12:13] offset:48
	global_load_dwordx4 v[72:75], v124, s[12:13] offset:176
	v_fma_f64 v[118:119], v[50:51], v[76:77], -v[118:119]
	v_fma_f64 v[122:123], v[48:49], v[76:77], v[78:79]
	s_clause 0x1
	global_load_dwordx4 v[48:51], v124, s[12:13] offset:64
	global_load_dwordx4 v[76:79], v124, s[12:13] offset:192
	s_waitcnt vmcnt(12)
	v_mul_f64 v[124:125], v[46:47], v[82:83]
	v_mul_f64 v[82:83], v[44:45], v[82:83]
	v_fma_f64 v[44:45], v[44:45], v[80:81], v[124:125]
	v_fma_f64 v[46:47], v[46:47], v[80:81], -v[82:83]
	s_waitcnt vmcnt(11)
	v_mul_f64 v[80:81], v[62:63], v[86:87]
	v_mul_f64 v[82:83], v[60:61], v[86:87]
	s_waitcnt vmcnt(10)
	v_mul_f64 v[86:87], v[20:21], v[90:91]
	v_mul_f64 v[90:91], v[22:23], v[90:91]
	v_fma_f64 v[60:61], v[60:61], v[84:85], v[80:81]
	v_fma_f64 v[62:63], v[62:63], v[84:85], -v[82:83]
	s_waitcnt vmcnt(8)
	v_mul_f64 v[80:81], v[40:41], v[98:99]
	v_mul_f64 v[82:83], v[42:43], v[98:99]
	s_waitcnt vmcnt(6)
	v_mul_f64 v[84:85], v[38:39], v[106:107]
	v_mul_f64 v[98:99], v[36:37], v[106:107]
	v_fma_f64 v[22:23], v[22:23], v[88:89], -v[86:87]
	s_waitcnt vmcnt(5)
	v_mul_f64 v[86:87], v[58:59], v[110:111]
	v_fma_f64 v[20:21], v[20:21], v[88:89], v[90:91]
	v_mul_f64 v[88:89], v[56:57], v[110:111]
	s_waitcnt vmcnt(4)
	v_mul_f64 v[90:91], v[16:17], v[114:115]
	v_fma_f64 v[42:43], v[42:43], v[96:97], -v[80:81]
	v_fma_f64 v[40:41], v[40:41], v[96:97], v[82:83]
	v_mul_f64 v[82:83], v[4:5], v[94:95]
	v_mul_f64 v[96:97], v[24:25], v[102:103]
	v_fma_f64 v[36:37], v[36:37], v[104:105], v[84:85]
	v_fma_f64 v[38:39], v[38:39], v[104:105], -v[98:99]
	v_mul_f64 v[94:95], v[6:7], v[94:95]
	v_mul_f64 v[98:99], v[26:27], v[102:103]
	v_fma_f64 v[56:57], v[56:57], v[108:109], v[86:87]
	v_mul_f64 v[86:87], v[18:19], v[114:115]
	v_fma_f64 v[58:59], v[58:59], v[108:109], -v[88:89]
	v_fma_f64 v[18:19], v[18:19], v[112:113], -v[90:91]
	v_mov_b32_e32 v104, 0xd0
	v_add_f64 v[42:43], v[22:23], -v[42:43]
	v_add_f64 v[40:41], v[20:21], -v[40:41]
	v_fma_f64 v[6:7], v[6:7], v[92:93], -v[82:83]
	v_fma_f64 v[26:27], v[26:27], v[100:101], -v[96:97]
	v_fma_f64 v[4:5], v[4:5], v[92:93], v[94:95]
	v_fma_f64 v[24:25], v[24:25], v[100:101], v[98:99]
	v_add_f64 v[56:57], v[36:37], -v[56:57]
	v_fma_f64 v[16:17], v[16:17], v[112:113], v[86:87]
	v_add_f64 v[58:59], v[38:39], -v[58:59]
	v_add_f64 v[18:19], v[2:3], -v[18:19]
	v_fma_f64 v[22:23], v[22:23], 2.0, -v[42:43]
	v_fma_f64 v[20:21], v[20:21], 2.0, -v[40:41]
	v_add_f64 v[26:27], v[6:7], -v[26:27]
	v_add_f64 v[24:25], v[4:5], -v[24:25]
	v_fma_f64 v[36:37], v[36:37], 2.0, -v[56:57]
	v_add_f64 v[16:17], v[0:1], -v[16:17]
	v_fma_f64 v[2:3], v[2:3], 2.0, -v[18:19]
	v_fma_f64 v[6:7], v[6:7], 2.0, -v[26:27]
	;; [unrolled: 1-line block ×3, first 2 shown]
	v_add_f64 v[36:37], v[20:21], -v[36:37]
	v_fma_f64 v[0:1], v[0:1], 2.0, -v[16:17]
	v_fma_f64 v[20:21], v[20:21], 2.0, -v[36:37]
	s_waitcnt vmcnt(3)
	v_mul_f64 v[106:107], v[10:11], v[34:35]
	s_waitcnt vmcnt(2)
	v_mul_f64 v[80:81], v[30:31], v[74:75]
	v_mul_f64 v[34:35], v[8:9], v[34:35]
	s_waitcnt vmcnt(1)
	v_mul_f64 v[110:111], v[14:15], v[50:51]
	s_waitcnt vmcnt(0)
	v_mul_f64 v[84:85], v[54:55], v[78:79]
	v_mul_f64 v[50:51], v[12:13], v[50:51]
	;; [unrolled: 1-line block ×4, first 2 shown]
	v_fma_f64 v[8:9], v[8:9], v[32:33], v[106:107]
	v_fma_f64 v[28:29], v[28:29], v[72:73], v[80:81]
	v_fma_f64 v[10:11], v[10:11], v[32:33], -v[34:35]
	v_fma_f64 v[12:13], v[12:13], v[48:49], v[110:111]
	v_fma_f64 v[52:53], v[52:53], v[76:77], v[84:85]
	v_fma_f64 v[14:15], v[14:15], v[48:49], -v[50:51]
	v_fma_f64 v[48:49], v[54:55], v[76:77], -v[78:79]
	;; [unrolled: 1-line block ×3, first 2 shown]
	v_add_f64 v[32:33], v[116:117], -v[118:119]
	v_add_f64 v[34:35], v[44:45], -v[60:61]
	;; [unrolled: 1-line block ×5, first 2 shown]
	v_add_f64 v[78:79], v[40:41], v[58:59]
	v_add_f64 v[28:29], v[8:9], -v[28:29]
	v_add_f64 v[52:53], v[12:13], -v[52:53]
	;; [unrolled: 1-line block ×4, first 2 shown]
	v_fma_f64 v[56:57], v[116:117], 2.0, -v[32:33]
	v_add_f64 v[60:61], v[32:33], -v[34:35]
	v_add_f64 v[72:73], v[50:51], v[54:55]
	v_fma_f64 v[46:47], v[46:47], 2.0, -v[54:55]
	v_fma_f64 v[42:43], v[42:43], 2.0, -v[76:77]
	;; [unrolled: 1-line block ×3, first 2 shown]
	v_add_f64 v[62:63], v[18:19], -v[28:29]
	v_fma_f64 v[8:9], v[8:9], 2.0, -v[28:29]
	v_fma_f64 v[28:29], v[44:45], 2.0, -v[34:35]
	v_add_f64 v[74:75], v[26:27], -v[52:53]
	v_fma_f64 v[12:13], v[12:13], 2.0, -v[52:53]
	v_add_f64 v[80:81], v[24:25], v[48:49]
	v_add_f64 v[82:83], v[16:17], v[30:31]
	v_fma_f64 v[10:11], v[10:11], 2.0, -v[30:31]
	v_fma_f64 v[30:31], v[120:121], 2.0, -v[50:51]
	;; [unrolled: 1-line block ×6, first 2 shown]
	v_add_f64 v[46:47], v[56:57], -v[46:47]
	v_fma_f64 v[18:19], v[18:19], 2.0, -v[62:63]
	v_fma_f64 v[44:45], v[60:61], s[0:1], v[62:63]
	v_add_f64 v[8:9], v[0:1], -v[8:9]
	v_fma_f64 v[26:27], v[26:27], 2.0, -v[74:75]
	v_add_f64 v[12:13], v[4:5], -v[12:13]
	v_fma_f64 v[24:25], v[24:25], 2.0, -v[80:81]
	v_fma_f64 v[16:17], v[16:17], 2.0, -v[82:83]
	v_add_f64 v[10:11], v[2:3], -v[10:11]
	v_add_f64 v[28:29], v[30:31], -v[28:29]
	v_fma_f64 v[48:49], v[76:77], s[0:1], v[74:75]
	v_add_f64 v[14:15], v[6:7], -v[14:15]
	v_add_f64 v[34:35], v[22:23], -v[34:35]
	v_fma_f64 v[50:51], v[78:79], s[0:1], v[80:81]
	v_fma_f64 v[52:53], v[72:73], s[0:1], v[82:83]
	v_fma_f64 v[56:57], v[56:57], 2.0, -v[46:47]
	v_fma_f64 v[54:55], v[32:33], s[4:5], v[18:19]
	v_fma_f64 v[44:45], v[72:73], s[4:5], v[44:45]
	v_fma_f64 v[0:1], v[0:1], 2.0, -v[8:9]
	v_fma_f64 v[58:59], v[42:43], s[4:5], v[26:27]
	v_fma_f64 v[4:5], v[4:5], 2.0, -v[12:13]
	v_fma_f64 v[84:85], v[40:41], s[4:5], v[24:25]
	v_fma_f64 v[86:87], v[38:39], s[4:5], v[16:17]
	v_fma_f64 v[2:3], v[2:3], 2.0, -v[10:11]
	v_fma_f64 v[30:31], v[30:31], 2.0, -v[28:29]
	v_fma_f64 v[48:49], v[78:79], s[4:5], v[48:49]
	v_add_f64 v[72:73], v[10:11], -v[28:29]
	v_add_f64 v[28:29], v[14:15], -v[36:37]
	v_fma_f64 v[6:7], v[6:7], 2.0, -v[14:15]
	v_fma_f64 v[22:23], v[22:23], 2.0, -v[34:35]
	v_add_f64 v[34:35], v[12:13], v[34:35]
	v_add_f64 v[46:47], v[8:9], v[46:47]
	v_fma_f64 v[36:37], v[76:77], s[0:1], v[50:51]
	v_fma_f64 v[50:51], v[60:61], s[0:1], v[52:53]
	;; [unrolled: 1-line block ×4, first 2 shown]
	v_add_f64 v[20:21], v[4:5], -v[20:21]
	v_fma_f64 v[40:41], v[42:43], s[0:1], v[84:85]
	v_fma_f64 v[60:61], v[32:33], s[0:1], v[86:87]
	v_add_f64 v[32:33], v[2:3], -v[56:57]
	v_add_f64 v[54:55], v[0:1], -v[30:31]
	v_fma_f64 v[56:57], v[62:63], 2.0, -v[44:45]
	v_fma_f64 v[30:31], v[74:75], 2.0, -v[48:49]
	;; [unrolled: 1-line block ×4, first 2 shown]
	v_add_f64 v[14:15], v[6:7], -v[22:23]
	v_fma_f64 v[12:13], v[12:13], 2.0, -v[34:35]
	v_fma_f64 v[74:75], v[8:9], 2.0, -v[46:47]
	;; [unrolled: 1-line block ×4, first 2 shown]
	v_fma_f64 v[8:9], v[48:49], s[6:7], v[44:45]
	v_fma_f64 v[10:11], v[28:29], s[0:1], v[72:73]
	v_fma_f64 v[76:77], v[18:19], 2.0, -v[52:53]
	v_fma_f64 v[18:19], v[34:35], s[0:1], v[46:47]
	v_fma_f64 v[78:79], v[26:27], 2.0, -v[38:39]
	v_fma_f64 v[92:93], v[4:5], 2.0, -v[20:21]
	;; [unrolled: 1-line block ×4, first 2 shown]
	v_fma_f64 v[16:17], v[36:37], s[6:7], v[50:51]
	v_fma_f64 v[24:25], v[38:39], s[16:17], v[52:53]
	v_fma_f64 v[86:87], v[2:3], 2.0, -v[32:33]
	v_fma_f64 v[26:27], v[30:31], s[14:15], v[56:57]
	v_fma_f64 v[90:91], v[0:1], 2.0, -v[54:55]
	;; [unrolled: 2-line block ×3, first 2 shown]
	v_fma_f64 v[98:99], v[40:41], s[16:17], v[60:61]
	v_fma_f64 v[94:95], v[12:13], s[4:5], v[74:75]
	;; [unrolled: 1-line block ×5, first 2 shown]
	v_add_f64 v[10:11], v[32:33], -v[20:21]
	v_add_f64 v[8:9], v[54:55], v[14:15]
	v_mul_u32_u24_sdwa v34, v69, v104 dst_sel:DWORD dst_unused:UNUSED_PAD src0_sel:WORD_0 src1_sel:DWORD
	v_fma_f64 v[4:5], v[28:29], s[0:1], v[18:19]
	v_fma_f64 v[100:101], v[78:79], s[18:19], v[76:77]
	v_or_b32_sdwa v69, v34, v71 dst_sel:DWORD dst_unused:UNUSED_PAD src0_sel:DWORD src1_sel:BYTE_0
	v_fma_f64 v[102:103], v[80:81], s[18:19], v[82:83]
	v_fma_f64 v[0:1], v[48:49], s[16:17], v[16:17]
	;; [unrolled: 1-line block ×4, first 2 shown]
	v_add_f64 v[24:25], v[90:91], -v[92:93]
	v_fma_f64 v[22:23], v[12:13], s[4:5], v[84:85]
	v_add_f64 v[26:27], v[86:87], -v[88:89]
	v_fma_f64 v[12:13], v[38:39], s[6:7], v[98:99]
	v_fma_f64 v[20:21], v[42:43], s[0:1], v[94:95]
	v_lshl_add_u32 v69, v69, 4, 0
	v_fma_f64 v[16:17], v[30:31], s[6:7], v[96:97]
	v_fma_f64 v[34:35], v[44:45], 2.0, -v[2:3]
	v_fma_f64 v[38:39], v[72:73], 2.0, -v[6:7]
	;; [unrolled: 1-line block ×5, first 2 shown]
	v_fma_f64 v[30:31], v[80:81], s[14:15], v[100:101]
	v_fma_f64 v[28:29], v[78:79], s[16:17], v[102:103]
	v_fma_f64 v[32:33], v[50:51], 2.0, -v[0:1]
	v_fma_f64 v[46:47], v[52:53], 2.0, -v[14:15]
	;; [unrolled: 1-line block ×11, first 2 shown]
	ds_write_b128 v69, v[8:11] offset:2496
	ds_write_b128 v69, v[4:7] offset:2912
	;; [unrolled: 1-line block ×9, first 2 shown]
	ds_write_b128 v69, v[56:59]
	ds_write_b128 v69, v[52:55] offset:416
	ds_write_b128 v69, v[48:51] offset:624
	;; [unrolled: 1-line block ×6, first 2 shown]
.LBB0_27:
	s_or_b32 exec_lo, exec_lo, s8
	v_lshlrev_b32_e32 v0, 2, v68
	v_mov_b32_e32 v1, 0
	s_waitcnt lgkmcnt(0)
	s_barrier
	buffer_gl0_inv
	s_mov_b32 s5, 0x3fee6f0e
	v_lshlrev_b64 v[2:3], 4, v[0:1]
	v_add_co_u32 v0, s0, s12, v2
	v_add_co_ci_u32_e64 v4, s0, s13, v3, s0
	v_add_co_u32 v2, s0, 0x800, v0
	v_add_co_ci_u32_e64 v3, s0, 0, v4, s0
	;; [unrolled: 2-line block ×3, first 2 shown]
	s_clause 0x3
	global_load_dwordx4 v[2:5], v[2:3], off offset:1072
	global_load_dwordx4 v[6:9], v[14:15], off offset:16
	global_load_dwordx4 v[10:13], v[14:15], off offset:32
	global_load_dwordx4 v[14:17], v[14:15], off offset:48
	ds_read_b128 v[18:21], v70 offset:3328
	ds_read_b128 v[22:25], v70 offset:6656
	;; [unrolled: 1-line block ×4, first 2 shown]
	s_mov_b32 s0, 0x134454ff
	s_mov_b32 s1, 0xbfee6f0e
	;; [unrolled: 1-line block ×3, first 2 shown]
	s_waitcnt vmcnt(3) lgkmcnt(3)
	v_mul_f64 v[34:35], v[20:21], v[4:5]
	s_waitcnt vmcnt(2) lgkmcnt(2)
	v_mul_f64 v[36:37], v[24:25], v[8:9]
	;; [unrolled: 2-line block ×4, first 2 shown]
	v_mul_f64 v[8:9], v[22:23], v[8:9]
	v_mul_f64 v[12:13], v[26:27], v[12:13]
	;; [unrolled: 1-line block ×4, first 2 shown]
	v_fma_f64 v[18:19], v[18:19], v[2:3], v[34:35]
	v_fma_f64 v[22:23], v[22:23], v[6:7], v[36:37]
	;; [unrolled: 1-line block ×4, first 2 shown]
	v_fma_f64 v[6:7], v[24:25], v[6:7], -v[8:9]
	v_fma_f64 v[8:9], v[28:29], v[10:11], -v[12:13]
	;; [unrolled: 1-line block ×4, first 2 shown]
	ds_read_b128 v[2:5], v70
	s_waitcnt lgkmcnt(0)
	s_barrier
	buffer_gl0_inv
	v_add_f64 v[12:13], v[22:23], v[26:27]
	v_add_f64 v[14:15], v[18:19], v[30:31]
	v_add_f64 v[38:39], v[18:19], -v[30:31]
	v_add_f64 v[16:17], v[6:7], v[8:9]
	v_add_f64 v[28:29], v[2:3], v[18:19]
	;; [unrolled: 1-line block ×4, first 2 shown]
	v_add_f64 v[32:33], v[20:21], -v[10:11]
	v_add_f64 v[34:35], v[6:7], -v[8:9]
	;; [unrolled: 1-line block ×8, first 2 shown]
	v_fma_f64 v[12:13], v[12:13], -0.5, v[2:3]
	v_fma_f64 v[2:3], v[14:15], -0.5, v[2:3]
	v_add_f64 v[14:15], v[22:23], -v[26:27]
	v_fma_f64 v[16:17], v[16:17], -0.5, v[4:5]
	v_fma_f64 v[4:5], v[24:25], -0.5, v[4:5]
	v_add_f64 v[24:25], v[18:19], -v[22:23]
	v_add_f64 v[18:19], v[22:23], -v[18:19]
	v_add_f64 v[22:23], v[28:29], v[22:23]
	v_add_f64 v[6:7], v[36:37], v[6:7]
	;; [unrolled: 1-line block ×3, first 2 shown]
	v_fma_f64 v[28:29], v[32:33], s[0:1], v[12:13]
	v_fma_f64 v[36:37], v[34:35], s[4:5], v[2:3]
	;; [unrolled: 1-line block ×8, first 2 shown]
	s_mov_b32 s0, 0x4755a5e
	s_mov_b32 s1, 0xbfe2cf23
	;; [unrolled: 1-line block ×4, first 2 shown]
	v_add_f64 v[22:23], v[22:23], v[26:27]
	v_add_f64 v[6:7], v[6:7], v[8:9]
	;; [unrolled: 1-line block ×5, first 2 shown]
	v_fma_f64 v[8:9], v[34:35], s[0:1], v[28:29]
	v_fma_f64 v[26:27], v[32:33], s[0:1], v[36:37]
	;; [unrolled: 1-line block ×8, first 2 shown]
	s_mov_b32 s0, 0x372fe950
	s_mov_b32 s1, 0x3fd3c6ef
	v_add_f64 v[2:3], v[22:23], v[30:31]
	v_add_f64 v[4:5], v[6:7], v[10:11]
	v_fma_f64 v[6:7], v[24:25], s[0:1], v[8:9]
	v_fma_f64 v[14:15], v[18:19], s[0:1], v[26:27]
	;; [unrolled: 1-line block ×8, first 2 shown]
	ds_write_b128 v70, v[2:5]
	ds_write_b128 v70, v[6:9] offset:3328
	ds_write_b128 v70, v[14:17] offset:6656
	;; [unrolled: 1-line block ×4, first 2 shown]
	s_waitcnt lgkmcnt(0)
	s_barrier
	buffer_gl0_inv
	s_and_saveexec_b32 s0, vcc_lo
	s_cbranch_execz .LBB0_29
; %bb.28:
	v_mul_lo_u32 v0, s3, v66
	v_mul_lo_u32 v4, s2, v67
	v_mad_u64_u32 v[2:3], null, s2, v66, 0
	v_mov_b32_e32 v69, v1
	v_lshlrev_b64 v[10:11], 4, v[64:65]
	v_lshl_add_u32 v18, v68, 4, 0
	v_lshlrev_b64 v[12:13], 4, v[68:69]
	v_add3_u32 v3, v3, v4, v0
	v_add_nc_u32_e32 v0, 0xd0, v68
	v_lshlrev_b64 v[14:15], 4, v[2:3]
	v_lshlrev_b64 v[16:17], 4, v[0:1]
	v_add_nc_u32_e32 v0, 0x1a0, v68
	ds_read_b128 v[2:5], v18
	ds_read_b128 v[6:9], v18 offset:3328
	v_add_co_u32 v14, vcc_lo, s10, v14
	v_add_co_ci_u32_e32 v15, vcc_lo, s11, v15, vcc_lo
	v_lshlrev_b64 v[22:23], 4, v[0:1]
	v_add_co_u32 v30, vcc_lo, v14, v10
	v_add_co_ci_u32_e32 v31, vcc_lo, v15, v11, vcc_lo
	v_add_nc_u32_e32 v0, 0x270, v68
	v_add_co_u32 v24, vcc_lo, v30, v12
	v_add_co_ci_u32_e32 v25, vcc_lo, v31, v13, vcc_lo
	v_add_co_u32 v26, vcc_lo, v30, v16
	v_add_co_ci_u32_e32 v27, vcc_lo, v31, v17, vcc_lo
	ds_read_b128 v[10:13], v18 offset:6656
	ds_read_b128 v[14:17], v18 offset:9984
	;; [unrolled: 1-line block ×3, first 2 shown]
	v_lshlrev_b64 v[28:29], 4, v[0:1]
	v_add_nc_u32_e32 v0, 0x340, v68
	v_add_co_u32 v22, vcc_lo, v30, v22
	v_add_co_ci_u32_e32 v23, vcc_lo, v31, v23, vcc_lo
	v_lshlrev_b64 v[0:1], 4, v[0:1]
	v_add_co_u32 v28, vcc_lo, v30, v28
	v_add_co_ci_u32_e32 v29, vcc_lo, v31, v29, vcc_lo
	v_add_co_u32 v0, vcc_lo, v30, v0
	v_add_co_ci_u32_e32 v1, vcc_lo, v31, v1, vcc_lo
	s_waitcnt lgkmcnt(4)
	global_store_dwordx4 v[24:25], v[2:5], off
	s_waitcnt lgkmcnt(3)
	global_store_dwordx4 v[26:27], v[6:9], off
	;; [unrolled: 2-line block ×5, first 2 shown]
.LBB0_29:
	s_endpgm
	.section	.rodata,"a",@progbits
	.p2align	6, 0x0
	.amdhsa_kernel fft_rtc_back_len1040_factors_13_16_5_wgs_208_tpt_208_halfLds_dp_op_CI_CI_unitstride_sbrr_C2R_dirReg
		.amdhsa_group_segment_fixed_size 0
		.amdhsa_private_segment_fixed_size 0
		.amdhsa_kernarg_size 104
		.amdhsa_user_sgpr_count 6
		.amdhsa_user_sgpr_private_segment_buffer 1
		.amdhsa_user_sgpr_dispatch_ptr 0
		.amdhsa_user_sgpr_queue_ptr 0
		.amdhsa_user_sgpr_kernarg_segment_ptr 1
		.amdhsa_user_sgpr_dispatch_id 0
		.amdhsa_user_sgpr_flat_scratch_init 0
		.amdhsa_user_sgpr_private_segment_size 0
		.amdhsa_wavefront_size32 1
		.amdhsa_uses_dynamic_stack 0
		.amdhsa_system_sgpr_private_segment_wavefront_offset 0
		.amdhsa_system_sgpr_workgroup_id_x 1
		.amdhsa_system_sgpr_workgroup_id_y 0
		.amdhsa_system_sgpr_workgroup_id_z 0
		.amdhsa_system_sgpr_workgroup_info 0
		.amdhsa_system_vgpr_workitem_id 0
		.amdhsa_next_free_vgpr 131
		.amdhsa_next_free_sgpr 44
		.amdhsa_reserve_vcc 1
		.amdhsa_reserve_flat_scratch 0
		.amdhsa_float_round_mode_32 0
		.amdhsa_float_round_mode_16_64 0
		.amdhsa_float_denorm_mode_32 3
		.amdhsa_float_denorm_mode_16_64 3
		.amdhsa_dx10_clamp 1
		.amdhsa_ieee_mode 1
		.amdhsa_fp16_overflow 0
		.amdhsa_workgroup_processor_mode 1
		.amdhsa_memory_ordered 1
		.amdhsa_forward_progress 0
		.amdhsa_shared_vgpr_count 0
		.amdhsa_exception_fp_ieee_invalid_op 0
		.amdhsa_exception_fp_denorm_src 0
		.amdhsa_exception_fp_ieee_div_zero 0
		.amdhsa_exception_fp_ieee_overflow 0
		.amdhsa_exception_fp_ieee_underflow 0
		.amdhsa_exception_fp_ieee_inexact 0
		.amdhsa_exception_int_div_zero 0
	.end_amdhsa_kernel
	.text
.Lfunc_end0:
	.size	fft_rtc_back_len1040_factors_13_16_5_wgs_208_tpt_208_halfLds_dp_op_CI_CI_unitstride_sbrr_C2R_dirReg, .Lfunc_end0-fft_rtc_back_len1040_factors_13_16_5_wgs_208_tpt_208_halfLds_dp_op_CI_CI_unitstride_sbrr_C2R_dirReg
                                        ; -- End function
	.section	.AMDGPU.csdata,"",@progbits
; Kernel info:
; codeLenInByte = 9688
; NumSgprs: 46
; NumVgprs: 131
; ScratchSize: 0
; MemoryBound: 0
; FloatMode: 240
; IeeeMode: 1
; LDSByteSize: 0 bytes/workgroup (compile time only)
; SGPRBlocks: 5
; VGPRBlocks: 16
; NumSGPRsForWavesPerEU: 46
; NumVGPRsForWavesPerEU: 131
; Occupancy: 7
; WaveLimiterHint : 1
; COMPUTE_PGM_RSRC2:SCRATCH_EN: 0
; COMPUTE_PGM_RSRC2:USER_SGPR: 6
; COMPUTE_PGM_RSRC2:TRAP_HANDLER: 0
; COMPUTE_PGM_RSRC2:TGID_X_EN: 1
; COMPUTE_PGM_RSRC2:TGID_Y_EN: 0
; COMPUTE_PGM_RSRC2:TGID_Z_EN: 0
; COMPUTE_PGM_RSRC2:TIDIG_COMP_CNT: 0
	.text
	.p2alignl 6, 3214868480
	.fill 48, 4, 3214868480
	.type	__hip_cuid_11d07e88c4cbdc6c,@object ; @__hip_cuid_11d07e88c4cbdc6c
	.section	.bss,"aw",@nobits
	.globl	__hip_cuid_11d07e88c4cbdc6c
__hip_cuid_11d07e88c4cbdc6c:
	.byte	0                               ; 0x0
	.size	__hip_cuid_11d07e88c4cbdc6c, 1

	.ident	"AMD clang version 19.0.0git (https://github.com/RadeonOpenCompute/llvm-project roc-6.4.0 25133 c7fe45cf4b819c5991fe208aaa96edf142730f1d)"
	.section	".note.GNU-stack","",@progbits
	.addrsig
	.addrsig_sym __hip_cuid_11d07e88c4cbdc6c
	.amdgpu_metadata
---
amdhsa.kernels:
  - .args:
      - .actual_access:  read_only
        .address_space:  global
        .offset:         0
        .size:           8
        .value_kind:     global_buffer
      - .offset:         8
        .size:           8
        .value_kind:     by_value
      - .actual_access:  read_only
        .address_space:  global
        .offset:         16
        .size:           8
        .value_kind:     global_buffer
      - .actual_access:  read_only
        .address_space:  global
        .offset:         24
        .size:           8
        .value_kind:     global_buffer
      - .actual_access:  read_only
        .address_space:  global
        .offset:         32
        .size:           8
        .value_kind:     global_buffer
      - .offset:         40
        .size:           8
        .value_kind:     by_value
      - .actual_access:  read_only
        .address_space:  global
        .offset:         48
        .size:           8
        .value_kind:     global_buffer
      - .actual_access:  read_only
        .address_space:  global
        .offset:         56
        .size:           8
        .value_kind:     global_buffer
      - .offset:         64
        .size:           4
        .value_kind:     by_value
      - .actual_access:  read_only
        .address_space:  global
        .offset:         72
        .size:           8
        .value_kind:     global_buffer
      - .actual_access:  read_only
        .address_space:  global
        .offset:         80
        .size:           8
        .value_kind:     global_buffer
      - .actual_access:  read_only
        .address_space:  global
        .offset:         88
        .size:           8
        .value_kind:     global_buffer
      - .actual_access:  write_only
        .address_space:  global
        .offset:         96
        .size:           8
        .value_kind:     global_buffer
    .group_segment_fixed_size: 0
    .kernarg_segment_align: 8
    .kernarg_segment_size: 104
    .language:       OpenCL C
    .language_version:
      - 2
      - 0
    .max_flat_workgroup_size: 208
    .name:           fft_rtc_back_len1040_factors_13_16_5_wgs_208_tpt_208_halfLds_dp_op_CI_CI_unitstride_sbrr_C2R_dirReg
    .private_segment_fixed_size: 0
    .sgpr_count:     46
    .sgpr_spill_count: 0
    .symbol:         fft_rtc_back_len1040_factors_13_16_5_wgs_208_tpt_208_halfLds_dp_op_CI_CI_unitstride_sbrr_C2R_dirReg.kd
    .uniform_work_group_size: 1
    .uses_dynamic_stack: false
    .vgpr_count:     131
    .vgpr_spill_count: 0
    .wavefront_size: 32
    .workgroup_processor_mode: 1
amdhsa.target:   amdgcn-amd-amdhsa--gfx1030
amdhsa.version:
  - 1
  - 2
...

	.end_amdgpu_metadata
